;; amdgpu-corpus repo=ROCm/rocFFT kind=compiled arch=gfx906 opt=O3
	.text
	.amdgcn_target "amdgcn-amd-amdhsa--gfx906"
	.amdhsa_code_object_version 6
	.protected	fft_rtc_back_len850_factors_10_5_17_wgs_85_tpt_85_sp_op_CI_CI_unitstride_sbrr_C2R_dirReg ; -- Begin function fft_rtc_back_len850_factors_10_5_17_wgs_85_tpt_85_sp_op_CI_CI_unitstride_sbrr_C2R_dirReg
	.globl	fft_rtc_back_len850_factors_10_5_17_wgs_85_tpt_85_sp_op_CI_CI_unitstride_sbrr_C2R_dirReg
	.p2align	8
	.type	fft_rtc_back_len850_factors_10_5_17_wgs_85_tpt_85_sp_op_CI_CI_unitstride_sbrr_C2R_dirReg,@function
fft_rtc_back_len850_factors_10_5_17_wgs_85_tpt_85_sp_op_CI_CI_unitstride_sbrr_C2R_dirReg: ; @fft_rtc_back_len850_factors_10_5_17_wgs_85_tpt_85_sp_op_CI_CI_unitstride_sbrr_C2R_dirReg
; %bb.0:
	s_load_dwordx4 s[8:11], s[4:5], 0x58
	s_load_dwordx4 s[12:15], s[4:5], 0x0
	;; [unrolled: 1-line block ×3, first 2 shown]
	v_mul_u32_u24_e32 v1, 0x304, v0
	v_add_u32_sdwa v5, s6, v1 dst_sel:DWORD dst_unused:UNUSED_PAD src0_sel:DWORD src1_sel:WORD_1
	v_mov_b32_e32 v3, 0
	s_waitcnt lgkmcnt(0)
	v_cmp_lt_u64_e64 s[0:1], s[14:15], 2
	v_mov_b32_e32 v1, 0
	v_mov_b32_e32 v6, v3
	s_and_b64 vcc, exec, s[0:1]
	v_mov_b32_e32 v2, 0
	s_cbranch_vccnz .LBB0_8
; %bb.1:
	s_load_dwordx2 s[0:1], s[4:5], 0x10
	s_add_u32 s2, s18, 8
	s_addc_u32 s3, s19, 0
	s_add_u32 s6, s16, 8
	v_mov_b32_e32 v1, 0
	s_addc_u32 s7, s17, 0
	v_mov_b32_e32 v2, 0
	s_waitcnt lgkmcnt(0)
	s_add_u32 s20, s0, 8
	v_mov_b32_e32 v33, v2
	s_addc_u32 s21, s1, 0
	s_mov_b64 s[22:23], 1
	v_mov_b32_e32 v32, v1
.LBB0_2:                                ; =>This Inner Loop Header: Depth=1
	s_load_dwordx2 s[24:25], s[20:21], 0x0
                                        ; implicit-def: $vgpr34_vgpr35
	s_waitcnt lgkmcnt(0)
	v_or_b32_e32 v4, s25, v6
	v_cmp_ne_u64_e32 vcc, 0, v[3:4]
	s_and_saveexec_b64 s[0:1], vcc
	s_xor_b64 s[26:27], exec, s[0:1]
	s_cbranch_execz .LBB0_4
; %bb.3:                                ;   in Loop: Header=BB0_2 Depth=1
	v_cvt_f32_u32_e32 v4, s24
	v_cvt_f32_u32_e32 v7, s25
	s_sub_u32 s0, 0, s24
	s_subb_u32 s1, 0, s25
	v_mac_f32_e32 v4, 0x4f800000, v7
	v_rcp_f32_e32 v4, v4
	v_mul_f32_e32 v4, 0x5f7ffffc, v4
	v_mul_f32_e32 v7, 0x2f800000, v4
	v_trunc_f32_e32 v7, v7
	v_mac_f32_e32 v4, 0xcf800000, v7
	v_cvt_u32_f32_e32 v7, v7
	v_cvt_u32_f32_e32 v4, v4
	v_mul_lo_u32 v8, s0, v7
	v_mul_hi_u32 v9, s0, v4
	v_mul_lo_u32 v11, s1, v4
	v_mul_lo_u32 v10, s0, v4
	v_add_u32_e32 v8, v9, v8
	v_add_u32_e32 v8, v8, v11
	v_mul_hi_u32 v9, v4, v10
	v_mul_lo_u32 v11, v4, v8
	v_mul_hi_u32 v13, v4, v8
	v_mul_hi_u32 v12, v7, v10
	v_mul_lo_u32 v10, v7, v10
	v_mul_hi_u32 v14, v7, v8
	v_add_co_u32_e32 v9, vcc, v9, v11
	v_addc_co_u32_e32 v11, vcc, 0, v13, vcc
	v_mul_lo_u32 v8, v7, v8
	v_add_co_u32_e32 v9, vcc, v9, v10
	v_addc_co_u32_e32 v9, vcc, v11, v12, vcc
	v_addc_co_u32_e32 v10, vcc, 0, v14, vcc
	v_add_co_u32_e32 v8, vcc, v9, v8
	v_addc_co_u32_e32 v9, vcc, 0, v10, vcc
	v_add_co_u32_e32 v4, vcc, v4, v8
	v_addc_co_u32_e32 v7, vcc, v7, v9, vcc
	v_mul_lo_u32 v8, s0, v7
	v_mul_hi_u32 v9, s0, v4
	v_mul_lo_u32 v10, s1, v4
	v_mul_lo_u32 v11, s0, v4
	v_add_u32_e32 v8, v9, v8
	v_add_u32_e32 v8, v8, v10
	v_mul_lo_u32 v12, v4, v8
	v_mul_hi_u32 v13, v4, v11
	v_mul_hi_u32 v14, v4, v8
	v_mul_hi_u32 v10, v7, v11
	v_mul_lo_u32 v11, v7, v11
	v_mul_hi_u32 v9, v7, v8
	v_add_co_u32_e32 v12, vcc, v13, v12
	v_addc_co_u32_e32 v13, vcc, 0, v14, vcc
	v_mul_lo_u32 v8, v7, v8
	v_add_co_u32_e32 v11, vcc, v12, v11
	v_addc_co_u32_e32 v10, vcc, v13, v10, vcc
	v_addc_co_u32_e32 v9, vcc, 0, v9, vcc
	v_add_co_u32_e32 v8, vcc, v10, v8
	v_addc_co_u32_e32 v9, vcc, 0, v9, vcc
	v_add_co_u32_e32 v4, vcc, v4, v8
	v_addc_co_u32_e32 v9, vcc, v7, v9, vcc
	v_mad_u64_u32 v[7:8], s[0:1], v5, v9, 0
	v_mul_hi_u32 v10, v5, v4
	v_add_co_u32_e32 v11, vcc, v10, v7
	v_addc_co_u32_e32 v12, vcc, 0, v8, vcc
	v_mad_u64_u32 v[7:8], s[0:1], v6, v4, 0
	v_mad_u64_u32 v[9:10], s[0:1], v6, v9, 0
	v_add_co_u32_e32 v4, vcc, v11, v7
	v_addc_co_u32_e32 v4, vcc, v12, v8, vcc
	v_addc_co_u32_e32 v7, vcc, 0, v10, vcc
	v_add_co_u32_e32 v4, vcc, v4, v9
	v_addc_co_u32_e32 v9, vcc, 0, v7, vcc
	v_mul_lo_u32 v10, s25, v4
	v_mul_lo_u32 v11, s24, v9
	v_mad_u64_u32 v[7:8], s[0:1], s24, v4, 0
	v_add3_u32 v8, v8, v11, v10
	v_sub_u32_e32 v10, v6, v8
	v_mov_b32_e32 v11, s25
	v_sub_co_u32_e32 v7, vcc, v5, v7
	v_subb_co_u32_e64 v10, s[0:1], v10, v11, vcc
	v_subrev_co_u32_e64 v11, s[0:1], s24, v7
	v_subbrev_co_u32_e64 v10, s[0:1], 0, v10, s[0:1]
	v_cmp_le_u32_e64 s[0:1], s25, v10
	v_cndmask_b32_e64 v12, 0, -1, s[0:1]
	v_cmp_le_u32_e64 s[0:1], s24, v11
	v_cndmask_b32_e64 v11, 0, -1, s[0:1]
	v_cmp_eq_u32_e64 s[0:1], s25, v10
	v_cndmask_b32_e64 v10, v12, v11, s[0:1]
	v_add_co_u32_e64 v11, s[0:1], 2, v4
	v_addc_co_u32_e64 v12, s[0:1], 0, v9, s[0:1]
	v_add_co_u32_e64 v13, s[0:1], 1, v4
	v_addc_co_u32_e64 v14, s[0:1], 0, v9, s[0:1]
	v_subb_co_u32_e32 v8, vcc, v6, v8, vcc
	v_cmp_ne_u32_e64 s[0:1], 0, v10
	v_cmp_le_u32_e32 vcc, s25, v8
	v_cndmask_b32_e64 v10, v14, v12, s[0:1]
	v_cndmask_b32_e64 v12, 0, -1, vcc
	v_cmp_le_u32_e32 vcc, s24, v7
	v_cndmask_b32_e64 v7, 0, -1, vcc
	v_cmp_eq_u32_e32 vcc, s25, v8
	v_cndmask_b32_e32 v7, v12, v7, vcc
	v_cmp_ne_u32_e32 vcc, 0, v7
	v_cndmask_b32_e64 v7, v13, v11, s[0:1]
	v_cndmask_b32_e32 v35, v9, v10, vcc
	v_cndmask_b32_e32 v34, v4, v7, vcc
.LBB0_4:                                ;   in Loop: Header=BB0_2 Depth=1
	s_andn2_saveexec_b64 s[0:1], s[26:27]
	s_cbranch_execz .LBB0_6
; %bb.5:                                ;   in Loop: Header=BB0_2 Depth=1
	v_cvt_f32_u32_e32 v4, s24
	s_sub_i32 s26, 0, s24
	v_mov_b32_e32 v35, v3
	v_rcp_iflag_f32_e32 v4, v4
	v_mul_f32_e32 v4, 0x4f7ffffe, v4
	v_cvt_u32_f32_e32 v4, v4
	v_mul_lo_u32 v7, s26, v4
	v_mul_hi_u32 v7, v4, v7
	v_add_u32_e32 v4, v4, v7
	v_mul_hi_u32 v4, v5, v4
	v_mul_lo_u32 v7, v4, s24
	v_add_u32_e32 v8, 1, v4
	v_sub_u32_e32 v7, v5, v7
	v_subrev_u32_e32 v9, s24, v7
	v_cmp_le_u32_e32 vcc, s24, v7
	v_cndmask_b32_e32 v7, v7, v9, vcc
	v_cndmask_b32_e32 v4, v4, v8, vcc
	v_add_u32_e32 v8, 1, v4
	v_cmp_le_u32_e32 vcc, s24, v7
	v_cndmask_b32_e32 v34, v4, v8, vcc
.LBB0_6:                                ;   in Loop: Header=BB0_2 Depth=1
	s_or_b64 exec, exec, s[0:1]
	v_mul_lo_u32 v4, v35, s24
	v_mul_lo_u32 v9, v34, s25
	v_mad_u64_u32 v[7:8], s[0:1], v34, s24, 0
	s_load_dwordx2 s[0:1], s[6:7], 0x0
	s_load_dwordx2 s[24:25], s[2:3], 0x0
	v_add3_u32 v4, v8, v9, v4
	v_sub_co_u32_e32 v5, vcc, v5, v7
	v_subb_co_u32_e32 v4, vcc, v6, v4, vcc
	s_waitcnt lgkmcnt(0)
	v_mul_lo_u32 v6, s0, v4
	v_mul_lo_u32 v7, s1, v5
	v_mad_u64_u32 v[1:2], s[0:1], s0, v5, v[1:2]
	v_mul_lo_u32 v4, s24, v4
	v_mul_lo_u32 v8, s25, v5
	v_mad_u64_u32 v[32:33], s[0:1], s24, v5, v[32:33]
	s_add_u32 s22, s22, 1
	s_addc_u32 s23, s23, 0
	s_add_u32 s2, s2, 8
	v_add3_u32 v33, v8, v33, v4
	s_addc_u32 s3, s3, 0
	v_mov_b32_e32 v4, s14
	s_add_u32 s6, s6, 8
	v_mov_b32_e32 v5, s15
	s_addc_u32 s7, s7, 0
	v_cmp_ge_u64_e32 vcc, s[22:23], v[4:5]
	s_add_u32 s20, s20, 8
	v_add3_u32 v2, v7, v2, v6
	s_addc_u32 s21, s21, 0
	s_cbranch_vccnz .LBB0_9
; %bb.7:                                ;   in Loop: Header=BB0_2 Depth=1
	v_mov_b32_e32 v5, v34
	v_mov_b32_e32 v6, v35
	s_branch .LBB0_2
.LBB0_8:
	v_mov_b32_e32 v33, v2
	v_mov_b32_e32 v35, v6
	;; [unrolled: 1-line block ×4, first 2 shown]
.LBB0_9:
	s_load_dwordx2 s[4:5], s[4:5], 0x28
	s_lshl_b64 s[6:7], s[14:15], 3
	s_add_u32 s2, s18, s6
	s_addc_u32 s3, s19, s7
                                        ; implicit-def: $vgpr36
	s_waitcnt lgkmcnt(0)
	v_cmp_gt_u64_e64 s[0:1], s[4:5], v[34:35]
	v_cmp_le_u64_e32 vcc, s[4:5], v[34:35]
	s_and_saveexec_b64 s[4:5], vcc
	s_xor_b64 s[4:5], exec, s[4:5]
; %bb.10:
	s_mov_b32 s14, 0x3030304
	v_mul_hi_u32 v1, v0, s14
	v_mul_u32_u24_e32 v1, 0x55, v1
	v_sub_u32_e32 v36, v0, v1
                                        ; implicit-def: $vgpr0
                                        ; implicit-def: $vgpr1_vgpr2
; %bb.11:
	s_or_saveexec_b64 s[4:5], s[4:5]
	s_load_dwordx2 s[2:3], s[2:3], 0x0
	s_xor_b64 exec, exec, s[4:5]
	s_cbranch_execz .LBB0_15
; %bb.12:
	s_add_u32 s6, s16, s6
	s_addc_u32 s7, s17, s7
	s_load_dwordx2 s[6:7], s[6:7], 0x0
	s_mov_b32 s14, 0x3030304
	v_mul_hi_u32 v5, v0, s14
	v_lshlrev_b64 v[1:2], 3, v[1:2]
	s_waitcnt lgkmcnt(0)
	v_mul_lo_u32 v6, s7, v34
	v_mul_lo_u32 v7, s6, v35
	v_mad_u64_u32 v[3:4], s[6:7], s6, v34, 0
	v_mul_u32_u24_e32 v5, 0x55, v5
	v_sub_u32_e32 v36, v0, v5
	v_add3_u32 v4, v4, v7, v6
	v_lshlrev_b64 v[3:4], 3, v[3:4]
	v_mov_b32_e32 v0, s9
	v_add_co_u32_e32 v3, vcc, s8, v3
	v_addc_co_u32_e32 v0, vcc, v0, v4, vcc
	v_add_co_u32_e32 v1, vcc, v3, v1
	v_addc_co_u32_e32 v0, vcc, v0, v2, vcc
	v_lshlrev_b32_e32 v26, 3, v36
	v_add_co_u32_e32 v2, vcc, v1, v26
	v_addc_co_u32_e32 v3, vcc, 0, v0, vcc
	v_add_co_u32_e32 v12, vcc, 0x1000, v2
	global_load_dwordx2 v[4:5], v[2:3], off
	global_load_dwordx2 v[6:7], v[2:3], off offset:680
	global_load_dwordx2 v[8:9], v[2:3], off offset:1360
	;; [unrolled: 1-line block ×3, first 2 shown]
	v_addc_co_u32_e32 v13, vcc, 0, v3, vcc
	global_load_dwordx2 v[14:15], v[2:3], off offset:2720
	global_load_dwordx2 v[16:17], v[2:3], off offset:3400
	;; [unrolled: 1-line block ×6, first 2 shown]
	s_movk_i32 s6, 0x54
	v_add_u32_e32 v2, 0, v26
	v_cmp_eq_u32_e32 vcc, s6, v36
	v_add_u32_e32 v3, 0x800, v2
	v_add_u32_e32 v12, 0xc00, v2
	;; [unrolled: 1-line block ×3, first 2 shown]
	s_waitcnt vmcnt(8)
	ds_write2_b64 v2, v[4:5], v[6:7] offset1:85
	s_waitcnt vmcnt(6)
	ds_write2_b64 v2, v[8:9], v[10:11] offset0:170 offset1:255
	s_waitcnt vmcnt(4)
	ds_write2_b64 v3, v[14:15], v[16:17] offset0:84 offset1:169
	;; [unrolled: 2-line block ×4, first 2 shown]
	s_and_saveexec_b64 s[6:7], vcc
	s_cbranch_execz .LBB0_14
; %bb.13:
	v_add_co_u32_e32 v1, vcc, 0x1000, v1
	v_addc_co_u32_e32 v2, vcc, 0, v0, vcc
	global_load_dwordx2 v[0:1], v[1:2], off offset:2704
	v_mov_b32_e32 v2, 0
	v_mov_b32_e32 v36, 0x54
	s_waitcnt vmcnt(0)
	ds_write_b64 v2, v[0:1] offset:6800
.LBB0_14:
	s_or_b64 exec, exec, s[6:7]
.LBB0_15:
	s_or_b64 exec, exec, s[4:5]
	v_lshlrev_b32_e32 v0, 3, v36
	v_add_u32_e32 v39, 0, v0
	s_waitcnt lgkmcnt(0)
	s_barrier
	v_sub_u32_e32 v4, 0, v0
	ds_read_b32 v5, v39
	ds_read_b32 v6, v4 offset:6800
	s_add_u32 s6, s12, 0x1a40
	s_addc_u32 s7, s13, 0
	v_cmp_ne_u32_e32 vcc, 0, v36
                                        ; implicit-def: $vgpr2_vgpr3
	s_waitcnt lgkmcnt(0)
	v_add_f32_e32 v0, v6, v5
	v_sub_f32_e32 v1, v5, v6
	s_and_saveexec_b64 s[4:5], vcc
	s_xor_b64 s[4:5], exec, s[4:5]
	s_cbranch_execz .LBB0_17
; %bb.16:
	v_mov_b32_e32 v37, 0
	v_lshlrev_b64 v[0:1], 3, v[36:37]
	v_mov_b32_e32 v2, s7
	v_add_co_u32_e32 v0, vcc, s6, v0
	v_addc_co_u32_e32 v1, vcc, v2, v1, vcc
	global_load_dwordx2 v[2:3], v[0:1], off
	ds_read_b32 v0, v4 offset:6804
	ds_read_b32 v1, v39 offset:4
	v_add_f32_e32 v7, v6, v5
	v_sub_f32_e32 v8, v5, v6
	s_waitcnt lgkmcnt(0)
	v_add_f32_e32 v9, v0, v1
	v_sub_f32_e32 v0, v1, v0
	s_waitcnt vmcnt(0)
	v_fma_f32 v10, v8, v3, v7
	v_fma_f32 v1, v9, v3, v0
	v_fma_f32 v5, -v8, v3, v7
	v_fma_f32 v6, v9, v3, -v0
	v_fma_f32 v0, -v2, v9, v10
	v_fmac_f32_e32 v1, v8, v2
	v_fmac_f32_e32 v5, v2, v9
	;; [unrolled: 1-line block ×3, first 2 shown]
	v_mov_b32_e32 v2, v36
	ds_write_b64 v4, v[5:6] offset:6800
	v_mov_b32_e32 v3, v37
.LBB0_17:
	s_andn2_saveexec_b64 s[4:5], s[4:5]
	s_cbranch_execz .LBB0_19
; %bb.18:
	v_mov_b32_e32 v7, 0
	ds_read_b64 v[2:3], v7 offset:3400
	s_waitcnt lgkmcnt(0)
	v_add_f32_e32 v5, v2, v2
	v_mul_f32_e32 v6, -2.0, v3
	v_mov_b32_e32 v2, 0
	v_mov_b32_e32 v3, 0
	ds_write_b64 v7, v[5:6] offset:3400
.LBB0_19:
	s_or_b64 exec, exec, s[4:5]
	v_lshlrev_b64 v[2:3], 3, v[2:3]
	v_mov_b32_e32 v5, s7
	v_add_co_u32_e32 v2, vcc, s6, v2
	v_addc_co_u32_e32 v3, vcc, v5, v3, vcc
	global_load_dwordx2 v[5:6], v[2:3], off offset:680
	global_load_dwordx2 v[7:8], v[2:3], off offset:1360
	;; [unrolled: 1-line block ×4, first 2 shown]
	ds_write_b64 v39, v[0:1]
	ds_read_b64 v[0:1], v39 offset:680
	ds_read_b64 v[2:3], v4 offset:6120
	v_add_u32_e32 v21, 0x800, v39
	v_add_u32_e32 v20, 0xc00, v39
	;; [unrolled: 1-line block ×3, first 2 shown]
	s_movk_i32 s4, 0x48
	s_waitcnt lgkmcnt(0)
	v_add_f32_e32 v13, v0, v2
	v_add_f32_e32 v14, v3, v1
	v_sub_f32_e32 v15, v0, v2
	v_sub_f32_e32 v0, v1, v3
	v_cmp_gt_u32_e32 vcc, 50, v36
	s_waitcnt vmcnt(3)
	v_fma_f32 v16, v15, v6, v13
	v_fma_f32 v1, v14, v6, v0
	v_fma_f32 v2, -v15, v6, v13
	v_fma_f32 v3, v14, v6, -v0
	v_fma_f32 v0, -v5, v14, v16
	v_fmac_f32_e32 v1, v15, v5
	v_fmac_f32_e32 v2, v5, v14
	v_fmac_f32_e32 v3, v15, v5
	ds_write_b64 v39, v[0:1] offset:680
	ds_write_b64 v4, v[2:3] offset:6120
	ds_read_b64 v[0:1], v39 offset:1360
	ds_read_b64 v[2:3], v4 offset:5440
	s_waitcnt lgkmcnt(0)
	v_add_f32_e32 v5, v0, v2
	v_add_f32_e32 v6, v3, v1
	v_sub_f32_e32 v13, v0, v2
	v_sub_f32_e32 v0, v1, v3
	s_waitcnt vmcnt(2)
	v_fma_f32 v14, v13, v8, v5
	v_fma_f32 v1, v6, v8, v0
	v_fma_f32 v2, -v13, v8, v5
	v_fma_f32 v3, v6, v8, -v0
	v_fma_f32 v0, -v7, v6, v14
	v_fmac_f32_e32 v1, v13, v7
	v_fmac_f32_e32 v2, v7, v6
	v_fmac_f32_e32 v3, v13, v7
	ds_write_b64 v39, v[0:1] offset:1360
	ds_write_b64 v4, v[2:3] offset:5440
	ds_read_b64 v[0:1], v39 offset:2040
	ds_read_b64 v[2:3], v4 offset:4760
	s_waitcnt lgkmcnt(0)
	v_add_f32_e32 v5, v0, v2
	v_add_f32_e32 v6, v3, v1
	v_sub_f32_e32 v7, v0, v2
	v_sub_f32_e32 v0, v1, v3
	;; [unrolled: 18-line block ×3, first 2 shown]
	s_waitcnt vmcnt(0)
	v_fma_f32 v8, v7, v12, v5
	v_fma_f32 v1, v6, v12, v0
	v_fma_f32 v2, -v7, v12, v5
	v_fma_f32 v3, v6, v12, -v0
	v_fma_f32 v0, -v11, v6, v8
	v_fmac_f32_e32 v1, v7, v11
	v_fmac_f32_e32 v2, v11, v6
	;; [unrolled: 1-line block ×3, first 2 shown]
	ds_write_b64 v39, v[0:1] offset:2720
	ds_write_b64 v4, v[2:3] offset:4080
	s_waitcnt lgkmcnt(0)
	s_barrier
	s_barrier
	ds_read2_b64 v[0:3], v39 offset1:85
	ds_read2_b64 v[4:7], v39 offset0:170 offset1:255
	ds_read2_b64 v[8:11], v21 offset0:84 offset1:169
	;; [unrolled: 1-line block ×4, first 2 shown]
	s_waitcnt lgkmcnt(0)
	v_add_f32_e32 v22, v0, v4
	v_sub_f32_e32 v25, v4, v8
	v_add_f32_e32 v23, v8, v12
	v_add_f32_e32 v26, v1, v5
	;; [unrolled: 1-line block ×4, first 2 shown]
	v_sub_f32_e32 v30, v8, v4
	v_sub_f32_e32 v37, v8, v12
	v_add_f32_e32 v8, v22, v8
	v_sub_f32_e32 v24, v9, v13
	v_add_f32_e32 v31, v9, v13
	v_sub_f32_e32 v38, v5, v9
	v_sub_f32_e32 v40, v9, v5
	v_add_f32_e32 v41, v10, v14
	v_sub_f32_e32 v42, v11, v15
	v_sub_f32_e32 v43, v6, v10
	;; [unrolled: 1-line block ×3, first 2 shown]
	v_add_f32_e32 v45, v11, v15
	v_sub_f32_e32 v46, v10, v14
	v_sub_f32_e32 v47, v7, v11
	;; [unrolled: 1-line block ×4, first 2 shown]
	v_add_f32_e32 v9, v26, v9
	v_add_f32_e32 v10, v27, v10
	;; [unrolled: 1-line block ×5, first 2 shown]
	v_sub_f32_e32 v49, v5, v17
	v_add_f32_e32 v50, v4, v16
	v_sub_f32_e32 v4, v4, v16
	v_add_f32_e32 v5, v5, v17
	v_add_f32_e32 v52, v6, v18
	;; [unrolled: 1-line block ×5, first 2 shown]
	v_sub_f32_e32 v22, v16, v12
	v_sub_f32_e32 v12, v12, v16
	;; [unrolled: 1-line block ×4, first 2 shown]
	v_add_f32_e32 v8, v8, v16
	v_fma_f32 v16, -0.5, v45, v3
	v_fmac_f32_e32 v3, -0.5, v7
	v_sub_f32_e32 v6, v6, v18
	v_sub_f32_e32 v26, v17, v13
	;; [unrolled: 1-line block ×5, first 2 shown]
	v_add_f32_e32 v9, v9, v17
	v_add_f32_e32 v10, v10, v18
	;; [unrolled: 1-line block ×4, first 2 shown]
	v_fma_f32 v18, -0.5, v23, v0
	v_fma_f32 v15, -0.5, v50, v0
	;; [unrolled: 1-line block ×6, first 2 shown]
	v_mov_b32_e32 v2, v3
	v_fmac_f32_e32 v3, 0x3f737871, v46
	v_fmac_f32_e32 v3, 0xbf167918, v6
	;; [unrolled: 1-line block ×3, first 2 shown]
	v_mul_f32_e32 v23, 0xbf737871, v3
	v_mul_f32_e32 v31, 0xbe9e377a, v3
	v_add_f32_e32 v3, v25, v22
	v_mov_b32_e32 v22, v18
	v_fmac_f32_e32 v22, 0xbf737871, v49
	v_fmac_f32_e32 v18, 0x3f737871, v49
	;; [unrolled: 1-line block ×6, first 2 shown]
	v_add_f32_e32 v3, v30, v12
	v_mov_b32_e32 v12, v15
	v_fmac_f32_e32 v12, 0x3f737871, v24
	v_fmac_f32_e32 v15, 0xbf737871, v24
	v_mov_b32_e32 v24, v19
	v_fmac_f32_e32 v12, 0xbf167918, v49
	v_fmac_f32_e32 v15, 0x3f167918, v49
	;; [unrolled: 1-line block ×6, first 2 shown]
	v_add_f32_e32 v3, v38, v26
	v_fmac_f32_e32 v24, 0x3f167918, v37
	v_fmac_f32_e32 v19, 0xbf167918, v37
	;; [unrolled: 1-line block ×4, first 2 shown]
	v_add_f32_e32 v3, v40, v13
	v_mov_b32_e32 v13, v17
	v_fmac_f32_e32 v13, 0xbf737871, v37
	v_fmac_f32_e32 v17, 0x3f737871, v37
	;; [unrolled: 1-line block ×4, first 2 shown]
	v_mov_b32_e32 v4, v0
	v_fmac_f32_e32 v4, 0xbf737871, v51
	v_fmac_f32_e32 v0, 0x3f737871, v51
	;; [unrolled: 1-line block ×4, first 2 shown]
	v_add_f32_e32 v3, v43, v27
	v_fmac_f32_e32 v4, 0xbf167918, v42
	v_fmac_f32_e32 v0, 0x3f167918, v42
	v_mov_b32_e32 v5, v1
	v_fmac_f32_e32 v4, 0x3e9e377a, v3
	v_fmac_f32_e32 v0, 0x3e9e377a, v3
	v_add_f32_e32 v3, v44, v14
	v_fmac_f32_e32 v5, 0x3f737871, v42
	v_fmac_f32_e32 v1, 0xbf737871, v42
	v_mov_b32_e32 v14, v16
	v_fmac_f32_e32 v5, 0xbf167918, v51
	v_fmac_f32_e32 v1, 0x3f167918, v51
	;; [unrolled: 1-line block ×5, first 2 shown]
	v_add_f32_e32 v3, v47, v29
	v_fmac_f32_e32 v14, 0x3f167918, v46
	v_fmac_f32_e32 v16, 0xbf737871, v6
	;; [unrolled: 1-line block ×8, first 2 shown]
	v_mul_f32_e32 v6, 0xbf167918, v14
	v_mul_f32_e32 v7, 0x3f167918, v4
	v_fmac_f32_e32 v6, 0x3f4f1bbd, v4
	v_fmac_f32_e32 v7, 0x3f4f1bbd, v14
	v_mul_f32_e32 v14, 0xbf737871, v2
	v_mul_f32_e32 v25, 0x3e9e377a, v2
	;; [unrolled: 1-line block ×4, first 2 shown]
	v_fmac_f32_e32 v14, 0x3e9e377a, v5
	v_fmac_f32_e32 v23, 0xbe9e377a, v1
	;; [unrolled: 1-line block ×6, first 2 shown]
	v_add_f32_e32 v0, v8, v10
	v_add_f32_e32 v1, v9, v11
	;; [unrolled: 1-line block ×4, first 2 shown]
	v_sub_f32_e32 v6, v22, v6
	v_mad_u32_u24 v22, v36, s4, v39
	s_movk_i32 s4, 0xcd
	v_sub_f32_e32 v2, v8, v10
	v_sub_f32_e32 v3, v9, v11
	;; [unrolled: 1-line block ×3, first 2 shown]
	v_add_f32_e32 v8, v12, v14
	v_add_f32_e32 v9, v13, v25
	v_sub_f32_e32 v10, v12, v14
	v_sub_f32_e32 v11, v13, v25
	v_add_f32_e32 v12, v15, v23
	v_add_f32_e32 v13, v17, v31
	v_sub_f32_e32 v14, v15, v23
	v_sub_f32_e32 v15, v17, v31
	;; [unrolled: 4-line block ×3, first 2 shown]
	s_barrier
	ds_write2_b64 v22, v[0:1], v[4:5] offset1:1
	ds_write2_b64 v22, v[8:9], v[12:13] offset0:2 offset1:3
	ds_write2_b64 v22, v[16:17], v[2:3] offset0:4 offset1:5
	;; [unrolled: 1-line block ×4, first 2 shown]
	v_mul_lo_u16_sdwa v0, v36, s4 dst_sel:DWORD dst_unused:UNUSED_PAD src0_sel:BYTE_0 src1_sel:DWORD
	v_lshrrev_b16_e32 v26, 11, v0
	v_mul_lo_u16_e32 v0, 10, v26
	v_sub_u16_e32 v27, v36, v0
	v_mov_b32_e32 v4, 5
	v_add_u16_e32 v5, 0x55, v36
	v_lshlrev_b32_sdwa v16, v4, v27 dst_sel:DWORD dst_unused:UNUSED_PAD src0_sel:DWORD src1_sel:BYTE_0
	v_mul_lo_u16_sdwa v6, v5, s4 dst_sel:DWORD dst_unused:UNUSED_PAD src0_sel:BYTE_0 src1_sel:DWORD
	s_waitcnt lgkmcnt(0)
	s_barrier
	global_load_dwordx4 v[0:3], v16, s[12:13]
	v_lshrrev_b16_e32 v29, 11, v6
	v_mul_lo_u16_e32 v6, 10, v29
	v_sub_u16_e32 v30, v5, v6
	v_lshlrev_b32_sdwa v17, v4, v30 dst_sel:DWORD dst_unused:UNUSED_PAD src0_sel:DWORD src1_sel:BYTE_0
	global_load_dwordx4 v[4:7], v17, s[12:13]
	global_load_dwordx4 v[8:11], v16, s[12:13] offset:16
	global_load_dwordx4 v[12:15], v17, s[12:13] offset:16
	ds_read2_b64 v[16:19], v39 offset0:170 offset1:255
	ds_read2_b64 v[22:25], v21 offset0:84 offset1:169
	s_waitcnt vmcnt(3) lgkmcnt(1)
	v_mul_f32_e32 v31, v1, v17
	v_mul_f32_e32 v1, v1, v16
	v_fmac_f32_e32 v31, v0, v16
	v_fma_f32 v16, v0, v17, -v1
	s_waitcnt lgkmcnt(0)
	v_mul_f32_e32 v17, v3, v23
	v_mul_f32_e32 v0, v3, v22
	v_fmac_f32_e32 v17, v2, v22
	v_fma_f32 v22, v2, v23, -v0
	s_waitcnt vmcnt(2)
	v_mul_f32_e32 v0, v5, v18
	v_mul_f32_e32 v23, v5, v19
	v_fma_f32 v19, v4, v19, -v0
	ds_read2_b64 v[0:3], v20 offset0:126 offset1:211
	v_fmac_f32_e32 v23, v4, v18
	v_mul_f32_e32 v37, v25, v7
	v_mul_f32_e32 v4, v24, v7
	v_fmac_f32_e32 v37, v24, v6
	v_fma_f32 v24, v25, v6, -v4
	ds_read2_b64 v[4:7], v28 offset0:168 offset1:253
	s_waitcnt vmcnt(1) lgkmcnt(1)
	v_mul_f32_e32 v18, v9, v1
	v_fmac_f32_e32 v18, v8, v0
	v_mul_f32_e32 v0, v9, v0
	v_fma_f32 v9, v8, v1, -v0
	s_waitcnt lgkmcnt(0)
	v_mul_f32_e32 v0, v11, v4
	v_mul_f32_e32 v25, v11, v5
	v_fma_f32 v38, v10, v5, -v0
	s_waitcnt vmcnt(0)
	v_mul_f32_e32 v40, v3, v13
	v_mul_f32_e32 v0, v2, v13
	v_fmac_f32_e32 v25, v10, v4
	v_fmac_f32_e32 v40, v2, v12
	v_fma_f32 v41, v3, v12, -v0
	ds_read2_b64 v[10:13], v39 offset1:85
	v_add_f32_e32 v2, v17, v18
	v_mul_f32_e32 v0, v6, v15
	v_sub_f32_e32 v3, v16, v38
	v_fma_f32 v43, v7, v14, -v0
	s_waitcnt lgkmcnt(0)
	v_fma_f32 v4, -0.5, v2, v10
	v_mov_b32_e32 v2, v4
	v_sub_f32_e32 v0, v31, v17
	v_sub_f32_e32 v1, v25, v18
	v_fmac_f32_e32 v2, 0xbf737871, v3
	v_sub_f32_e32 v5, v22, v9
	v_fmac_f32_e32 v4, 0x3f737871, v3
	v_mul_f32_e32 v42, v7, v15
	v_add_f32_e32 v1, v0, v1
	v_fmac_f32_e32 v2, 0xbf167918, v5
	v_fmac_f32_e32 v4, 0x3f167918, v5
	;; [unrolled: 1-line block ×5, first 2 shown]
	v_sub_f32_e32 v1, v17, v31
	v_sub_f32_e32 v6, v18, v25
	v_add_f32_e32 v1, v1, v6
	v_add_f32_e32 v6, v31, v25
	;; [unrolled: 1-line block ×3, first 2 shown]
	v_fma_f32 v10, -0.5, v6, v10
	v_mov_b32_e32 v8, v10
	v_fmac_f32_e32 v8, 0x3f737871, v5
	v_fmac_f32_e32 v10, 0xbf737871, v5
	;; [unrolled: 1-line block ×4, first 2 shown]
	v_add_f32_e32 v3, v22, v9
	v_fma_f32 v5, -0.5, v3, v11
	v_sub_f32_e32 v3, v16, v22
	v_sub_f32_e32 v14, v38, v9
	;; [unrolled: 1-line block ×3, first 2 shown]
	v_add_f32_e32 v14, v3, v14
	v_mov_b32_e32 v3, v5
	v_sub_f32_e32 v7, v17, v18
	v_fmac_f32_e32 v3, 0x3f737871, v6
	v_fmac_f32_e32 v5, 0xbf737871, v6
	;; [unrolled: 1-line block ×4, first 2 shown]
	v_add_f32_e32 v1, v11, v16
	v_fmac_f32_e32 v3, 0x3f167918, v7
	v_fmac_f32_e32 v5, 0xbf167918, v7
	v_add_f32_e32 v1, v1, v22
	v_fmac_f32_e32 v3, 0x3e9e377a, v14
	v_fmac_f32_e32 v5, 0x3e9e377a, v14
	v_add_f32_e32 v14, v16, v38
	v_add_f32_e32 v1, v1, v9
	v_fma_f32 v11, -0.5, v14, v11
	v_sub_f32_e32 v14, v22, v16
	v_sub_f32_e32 v9, v9, v38
	v_add_f32_e32 v14, v14, v9
	v_mov_b32_e32 v9, v11
	v_fmac_f32_e32 v9, 0xbf737871, v7
	v_fmac_f32_e32 v11, 0x3f737871, v7
	v_fmac_f32_e32 v9, 0x3f167918, v6
	v_fmac_f32_e32 v11, 0xbf167918, v6
	v_fmac_f32_e32 v9, 0x3e9e377a, v14
	v_fmac_f32_e32 v11, 0x3e9e377a, v14
	v_sub_f32_e32 v7, v23, v37
	v_sub_f32_e32 v14, v42, v40
	v_add_f32_e32 v7, v7, v14
	v_add_f32_e32 v14, v37, v40
	v_fma_f32 v14, -0.5, v14, v12
	v_sub_f32_e32 v15, v19, v43
	v_mov_b32_e32 v16, v14
	v_add_f32_e32 v0, v0, v17
	v_fmac_f32_e32 v16, 0xbf737871, v15
	v_sub_f32_e32 v17, v24, v41
	v_fmac_f32_e32 v14, 0x3f737871, v15
	v_fmac_f32_e32 v16, 0xbf167918, v17
	;; [unrolled: 1-line block ×5, first 2 shown]
	v_add_f32_e32 v7, v23, v42
	v_add_f32_e32 v0, v0, v18
	;; [unrolled: 1-line block ×3, first 2 shown]
	v_fma_f32 v12, -0.5, v7, v12
	v_sub_f32_e32 v7, v37, v23
	v_sub_f32_e32 v18, v40, v42
	v_add_f32_e32 v7, v7, v18
	v_mov_b32_e32 v18, v12
	v_fmac_f32_e32 v18, 0x3f737871, v17
	v_fmac_f32_e32 v12, 0xbf737871, v17
	;; [unrolled: 1-line block ×4, first 2 shown]
	v_add_f32_e32 v15, v24, v41
	v_add_f32_e32 v0, v0, v25
	v_fma_f32 v15, -0.5, v15, v13
	v_sub_f32_e32 v17, v19, v24
	v_sub_f32_e32 v25, v43, v41
	;; [unrolled: 1-line block ×3, first 2 shown]
	v_add_f32_e32 v25, v17, v25
	v_mov_b32_e32 v17, v15
	v_sub_f32_e32 v23, v37, v40
	v_fmac_f32_e32 v17, 0x3f737871, v22
	v_fmac_f32_e32 v15, 0xbf737871, v22
	;; [unrolled: 1-line block ×6, first 2 shown]
	v_add_f32_e32 v7, v13, v19
	v_fmac_f32_e32 v17, 0x3e9e377a, v25
	v_fmac_f32_e32 v15, 0x3e9e377a, v25
	v_add_f32_e32 v25, v19, v43
	v_add_f32_e32 v7, v7, v24
	v_fmac_f32_e32 v13, -0.5, v25
	v_sub_f32_e32 v19, v24, v19
	v_sub_f32_e32 v24, v41, v43
	v_add_f32_e32 v24, v19, v24
	v_mov_b32_e32 v19, v13
	v_fmac_f32_e32 v19, 0xbf737871, v23
	v_fmac_f32_e32 v13, 0x3f737871, v23
	;; [unrolled: 1-line block ×4, first 2 shown]
	v_mov_b32_e32 v23, 3
	v_fmac_f32_e32 v19, 0x3e9e377a, v24
	v_fmac_f32_e32 v13, 0x3e9e377a, v24
	v_mul_u32_u24_e32 v22, 0x190, v26
	v_lshlrev_b32_sdwa v24, v23, v27 dst_sel:DWORD dst_unused:UNUSED_PAD src0_sel:DWORD src1_sel:BYTE_0
	v_add_f32_e32 v1, v1, v38
	v_add_f32_e32 v6, v6, v37
	v_add3_u32 v22, 0, v22, v24
	v_add_f32_e32 v6, v6, v40
	v_add_f32_e32 v7, v7, v41
	s_barrier
	ds_write2_b64 v22, v[0:1], v[2:3] offset1:10
	ds_write2_b64 v22, v[8:9], v[10:11] offset0:20 offset1:30
	ds_write_b64 v22, v[4:5] offset:320
	v_lshlrev_b32_sdwa v22, v23, v30 dst_sel:DWORD dst_unused:UNUSED_PAD src0_sel:DWORD src1_sel:BYTE_0
	v_mul_u32_u24_e32 v23, 0x190, v29
	v_add_f32_e32 v6, v6, v42
	v_add_f32_e32 v7, v7, v43
	v_add3_u32 v22, 0, v23, v22
	ds_write2_b64 v22, v[6:7], v[16:17] offset1:10
	ds_write2_b64 v22, v[18:19], v[12:13] offset0:20 offset1:30
	ds_write_b64 v22, v[14:15] offset:320
	s_waitcnt lgkmcnt(0)
	s_barrier
	s_waitcnt lgkmcnt(0)
                                        ; implicit-def: $vgpr38
                                        ; implicit-def: $vgpr31
                                        ; implicit-def: $vgpr27
                                        ; implicit-def: $vgpr23
	s_and_saveexec_b64 s[4:5], vcc
	s_cbranch_execz .LBB0_21
; %bb.20:
	ds_read2_b64 v[0:3], v39 offset1:50
	ds_read2_b64 v[8:11], v39 offset0:100 offset1:150
	ds_read2_b64 v[4:7], v39 offset0:200 offset1:250
	;; [unrolled: 1-line block ×7, first 2 shown]
	ds_read_b64 v[37:38], v39 offset:6400
.LBB0_21:
	s_or_b64 exec, exec, s[4:5]
	s_waitcnt lgkmcnt(0)
	s_barrier
	s_and_saveexec_b64 s[4:5], vcc
	s_cbranch_execz .LBB0_23
; %bb.22:
	v_lshlrev_b32_e32 v40, 4, v36
	v_add_u32_e32 v41, 0xfffffce0, v40
	v_cndmask_b32_e32 v40, v41, v40, vcc
	v_mov_b32_e32 v41, 0
	v_lshlrev_b64 v[40:41], 3, v[40:41]
	v_mov_b32_e32 v42, s13
	v_add_co_u32_e32 v40, vcc, s12, v40
	v_addc_co_u32_e32 v41, vcc, v42, v41, vcc
	global_load_dwordx4 v[58:61], v[40:41], off offset:432
	global_load_dwordx4 v[62:65], v[40:41], off offset:320
	;; [unrolled: 1-line block ×8, first 2 shown]
	s_mov_b32 s6, 0xbf7ba420
	s_mov_b32 s8, 0x3f6eb680
	;; [unrolled: 1-line block ×8, first 2 shown]
	s_waitcnt vmcnt(7)
	v_mul_f32_e32 v55, v37, v61
	s_waitcnt vmcnt(6)
	v_mul_f32_e32 v56, v2, v63
	v_mul_f32_e32 v57, v8, v65
	;; [unrolled: 1-line block ×4, first 2 shown]
	v_fma_f32 v56, v3, v62, -v56
	v_fma_f32 v38, v38, v60, -v55
	v_mul_f32_e32 v43, v3, v63
	v_mul_f32_e32 v41, v31, v59
	s_waitcnt vmcnt(5)
	v_mul_f32_e32 v59, v28, v69
	s_waitcnt vmcnt(4)
	v_mul_f32_e32 v63, v10, v71
	v_fma_f32 v57, v9, v64, -v57
	v_fma_f32 v31, v31, v58, -v61
	v_add_f32_e32 v116, v56, v38
	v_mul_f32_e32 v44, v9, v65
	v_mul_f32_e32 v42, v29, v69
	;; [unrolled: 1-line block ×4, first 2 shown]
	s_waitcnt vmcnt(0)
	v_mul_f32_e32 v52, v19, v88
	v_fmac_f32_e32 v43, v2, v62
	v_fmac_f32_e32 v40, v37, v60
	v_fmac_f32_e32 v41, v30, v58
	v_fma_f32 v61, v11, v70, -v63
	v_fma_f32 v30, v29, v68, -v59
	v_add_f32_e32 v114, v57, v31
	v_mul_f32_e32 v58, 0xbf7ba420, v116
	v_mul_f32_e32 v46, v11, v71
	;; [unrolled: 1-line block ×9, first 2 shown]
	v_fmac_f32_e32 v44, v8, v64
	v_fma_f32 v63, v5, v72, -v69
	v_fma_f32 v59, v27, v66, -v65
	v_fmac_f32_e32 v52, v18, v87
	v_sub_f32_e32 v18, v43, v40
	v_add_f32_e32 v112, v61, v30
	v_mul_f32_e32 v55, 0x3f6eb680, v114
	v_mov_b32_e32 v2, v58
	v_mul_f32_e32 v51, v17, v81
	v_fmac_f32_e32 v46, v10, v70
	v_fmac_f32_e32 v42, v28, v68
	v_fma_f32 v62, v25, v76, -v67
	v_fma_f32 v67, v17, v80, -v73
	v_sub_f32_e32 v17, v44, v41
	v_add_f32_e32 v110, v63, v59
	v_mul_f32_e32 v37, 0xbf59a7d5, v112
	v_mov_b32_e32 v3, v55
	v_fmac_f32_e32 v2, 0x3e3c28d5, v18
	v_fmac_f32_e32 v48, v4, v72
	;; [unrolled: 1-line block ×4, first 2 shown]
	v_sub_f32_e32 v16, v46, v42
	v_mov_b32_e32 v4, v37
	v_fmac_f32_e32 v3, 0xbeb8f4ab, v17
	v_add_f32_e32 v2, v1, v2
	v_mul_f32_e32 v60, 0x3f3d2fb0, v110
	v_fma_f32 v64, v7, v78, -v71
	v_fma_f32 v70, v19, v87, -v79
	v_fmac_f32_e32 v4, 0x3f06c442, v16
	v_add_f32_e32 v2, v3, v2
	v_sub_f32_e32 v19, v48, v45
	v_mov_b32_e32 v3, v60
	v_mul_f32_e32 v47, v25, v77
	v_mul_f32_e32 v77, v22, v75
	v_add_f32_e32 v2, v4, v2
	v_fmac_f32_e32 v3, 0xbf2c7751, v19
	v_add_f32_e32 v120, v64, v62
	v_fmac_f32_e32 v50, v6, v78
	v_fmac_f32_e32 v47, v24, v76
	v_fma_f32 v65, v23, v74, -v77
	v_add_f32_e32 v2, v3, v2
	v_mul_f32_e32 v3, v14, v84
	v_mul_f32_e32 v76, v15, v84
	v_mul_f32_e32 v66, 0xbf1a4643, v120
	v_mul_f32_e32 v49, v23, v75
	v_mul_f32_e32 v75, v20, v86
	v_fma_f32 v82, v15, v83, -v3
	v_fmac_f32_e32 v76, v14, v83
	v_sub_f32_e32 v14, v50, v47
	v_mov_b32_e32 v3, v66
	v_add_f32_e32 v121, v67, v65
	v_fmac_f32_e32 v49, v22, v74
	v_fma_f32 v68, v21, v85, -v75
	v_fmac_f32_e32 v3, 0x3f4c4adb, v14
	v_mul_f32_e32 v69, 0x3ee437d1, v121
	v_mul_f32_e32 v54, v21, v86
	v_add_f32_e32 v2, v3, v2
	v_sub_f32_e32 v15, v51, v49
	v_mov_b32_e32 v3, v69
	v_add_f32_e32 v122, v70, v68
	v_fmac_f32_e32 v54, v20, v85
	v_fmac_f32_e32 v3, 0xbf65296c, v15
	v_mul_f32_e32 v71, 0xbe8c1d8e, v122
	v_add_f32_e32 v2, v3, v2
	v_sub_f32_e32 v20, v52, v54
	v_mov_b32_e32 v3, v71
	v_sub_f32_e32 v123, v56, v38
	v_fmac_f32_e32 v3, 0x3f763a35, v20
	v_mul_f32_e32 v73, 0xbe3c28d5, v123
	v_sub_f32_e32 v124, v57, v31
	v_add_f32_e32 v2, v3, v2
	v_add_f32_e32 v21, v43, v40
	v_mov_b32_e32 v3, v73
	v_mul_f32_e32 v74, 0x3eb8f4ab, v124
	v_fmac_f32_e32 v3, 0xbf7ba420, v21
	v_add_f32_e32 v22, v44, v41
	v_mov_b32_e32 v4, v74
	v_sub_f32_e32 v125, v61, v30
	v_add_f32_e32 v3, v0, v3
	v_fmac_f32_e32 v4, 0x3f6eb680, v22
	v_mul_f32_e32 v75, 0xbf06c442, v125
	v_add_f32_e32 v3, v4, v3
	v_add_f32_e32 v23, v46, v42
	v_mov_b32_e32 v4, v75
	v_sub_f32_e32 v126, v63, v59
	v_fmac_f32_e32 v4, 0xbf59a7d5, v23
	v_mul_f32_e32 v77, 0x3f2c7751, v126
	v_add_f32_e32 v3, v4, v3
	v_add_f32_e32 v24, v48, v45
	v_mov_b32_e32 v4, v77
	v_sub_f32_e32 v127, v64, v62
	;; [unrolled: 6-line block ×3, first 2 shown]
	v_fmac_f32_e32 v4, 0xbf1a4643, v25
	v_mul_f32_e32 v79, 0x3f65296c, v128
	v_mul_f32_e32 v81, v12, v90
	v_add_f32_e32 v3, v4, v3
	v_add_f32_e32 v26, v51, v49
	v_mov_b32_e32 v4, v79
	v_sub_f32_e32 v129, v70, v68
	v_fma_f32 v72, v13, v89, -v81
	v_fmac_f32_e32 v4, 0x3ee437d1, v26
	v_mul_f32_e32 v80, 0xbf763a35, v129
	v_mul_f32_e32 v53, v13, v90
	v_add_f32_e32 v3, v4, v3
	v_add_f32_e32 v27, v52, v54
	v_mov_b32_e32 v4, v80
	v_add_f32_e32 v130, v72, v82
	v_fmac_f32_e32 v53, v12, v89
	v_fmac_f32_e32 v4, 0xbe8c1d8e, v27
	v_mul_f32_e32 v81, 0x3dbcf732, v130
	v_add_f32_e32 v4, v4, v3
	v_sub_f32_e32 v29, v53, v76
	v_mov_b32_e32 v3, v81
	v_sub_f32_e32 v131, v72, v82
	v_fmac_f32_e32 v3, 0xbf7ee86f, v29
	v_mul_f32_e32 v83, 0x3f7ee86f, v131
	v_add_f32_e32 v3, v3, v2
	v_add_f32_e32 v28, v53, v76
	v_mov_b32_e32 v2, v83
	v_fmac_f32_e32 v2, 0x3dbcf732, v28
	v_mul_f32_e32 v84, 0xbf59a7d5, v116
	v_add_f32_e32 v2, v2, v4
	v_mov_b32_e32 v4, v84
	v_mul_f32_e32 v85, 0x3ee437d1, v114
	v_fmac_f32_e32 v4, 0x3f06c442, v18
	v_mov_b32_e32 v5, v85
	v_add_f32_e32 v4, v1, v4
	v_fmac_f32_e32 v5, 0xbf65296c, v17
	v_mul_f32_e32 v86, 0x3dbcf732, v112
	v_add_f32_e32 v4, v5, v4
	v_mov_b32_e32 v5, v86
	v_fmac_f32_e32 v5, 0x3f7ee86f, v16
	v_mul_f32_e32 v87, 0xbf1a4643, v110
	v_add_f32_e32 v4, v5, v4
	v_mov_b32_e32 v5, v87
	v_fmac_f32_e32 v5, 0xbf4c4adb, v19
	v_mul_f32_e32 v88, 0x3f6eb680, v120
	v_add_f32_e32 v4, v5, v4
	v_mov_b32_e32 v5, v88
	v_fmac_f32_e32 v5, 0x3eb8f4ab, v14
	v_mul_f32_e32 v89, 0xbf7ba420, v121
	v_add_f32_e32 v4, v5, v4
	v_mov_b32_e32 v5, v89
	v_fmac_f32_e32 v5, 0x3e3c28d5, v15
	v_mul_f32_e32 v90, 0x3f3d2fb0, v122
	v_add_f32_e32 v4, v5, v4
	v_mov_b32_e32 v5, v90
	v_fmac_f32_e32 v5, 0xbf2c7751, v20
	v_mul_f32_e32 v91, 0xbf06c442, v123
	v_add_f32_e32 v4, v5, v4
	v_mov_b32_e32 v5, v91
	v_mul_f32_e32 v92, 0x3f65296c, v124
	v_fmac_f32_e32 v5, 0xbf59a7d5, v21
	v_mov_b32_e32 v6, v92
	v_add_f32_e32 v5, v0, v5
	v_fmac_f32_e32 v6, 0x3ee437d1, v22
	v_mul_f32_e32 v93, 0xbf7ee86f, v125
	v_add_f32_e32 v5, v6, v5
	v_mov_b32_e32 v6, v93
	v_fmac_f32_e32 v6, 0x3dbcf732, v23
	v_mul_f32_e32 v94, 0x3f4c4adb, v126
	v_add_f32_e32 v5, v6, v5
	v_mov_b32_e32 v6, v94
	v_fmac_f32_e32 v6, 0xbf1a4643, v24
	v_mul_f32_e32 v95, 0xbeb8f4ab, v127
	v_add_f32_e32 v5, v6, v5
	v_mov_b32_e32 v6, v95
	v_fmac_f32_e32 v6, 0x3f6eb680, v25
	v_mul_f32_e32 v96, 0xbe3c28d5, v128
	v_add_f32_e32 v5, v6, v5
	v_mov_b32_e32 v6, v96
	v_fmac_f32_e32 v6, 0xbf7ba420, v26
	v_mul_f32_e32 v97, 0x3f2c7751, v129
	v_add_f32_e32 v5, v6, v5
	v_mov_b32_e32 v6, v97
	v_fmac_f32_e32 v6, 0x3f3d2fb0, v27
	v_mul_f32_e32 v98, 0xbe8c1d8e, v130
	v_add_f32_e32 v6, v6, v5
	v_mov_b32_e32 v5, v98
	v_fmac_f32_e32 v5, 0x3f763a35, v29
	v_mul_f32_e32 v99, 0xbf763a35, v131
	v_add_f32_e32 v5, v5, v4
	v_mov_b32_e32 v4, v99
	v_fmac_f32_e32 v4, 0xbe8c1d8e, v28
	v_mul_f32_e32 v100, 0xbf1a4643, v116
	v_add_f32_e32 v4, v4, v6
	v_mov_b32_e32 v6, v100
	v_mul_f32_e32 v101, 0xbe8c1d8e, v114
	v_fmac_f32_e32 v6, 0x3f4c4adb, v18
	v_mov_b32_e32 v7, v101
	v_add_f32_e32 v6, v1, v6
	v_fmac_f32_e32 v7, 0xbf763a35, v17
	v_mul_f32_e32 v102, 0x3f6eb680, v112
	v_add_f32_e32 v6, v7, v6
	v_mov_b32_e32 v7, v102
	v_fmac_f32_e32 v7, 0x3eb8f4ab, v16
	v_mul_f32_e32 v103, 0xbf59a7d5, v110
	v_add_f32_e32 v6, v7, v6
	v_mov_b32_e32 v7, v103
	v_fmac_f32_e32 v7, 0x3f06c442, v19
	v_mul_f32_e32 v104, 0x3dbcf732, v120
	v_add_f32_e32 v6, v7, v6
	v_mov_b32_e32 v7, v104
	v_fmac_f32_e32 v7, 0xbf7ee86f, v14
	v_mul_f32_e32 v105, 0x3f3d2fb0, v121
	v_add_f32_e32 v6, v7, v6
	v_mov_b32_e32 v7, v105
	v_fmac_f32_e32 v7, 0x3f2c7751, v15
	v_mul_f32_e32 v106, 0xbf7ba420, v122
	v_add_f32_e32 v6, v7, v6
	v_mov_b32_e32 v7, v106
	v_fmac_f32_e32 v7, 0x3e3c28d5, v20
	v_mul_f32_e32 v107, 0xbf4c4adb, v123
	v_add_f32_e32 v6, v7, v6
	v_mov_b32_e32 v7, v107
	v_mul_f32_e32 v108, 0x3f763a35, v124
	v_fmac_f32_e32 v7, 0xbf1a4643, v21
	v_mov_b32_e32 v8, v108
	v_add_f32_e32 v7, v0, v7
	v_fmac_f32_e32 v8, 0xbe8c1d8e, v22
	v_mul_f32_e32 v109, 0xbeb8f4ab, v125
	v_add_f32_e32 v7, v8, v7
	v_mov_b32_e32 v8, v109
	v_fmac_f32_e32 v8, 0x3f6eb680, v23
	v_mul_f32_e32 v111, 0xbf06c442, v126
	v_add_f32_e32 v7, v8, v7
	v_mov_b32_e32 v8, v111
	v_fmac_f32_e32 v8, 0xbf59a7d5, v24
	v_mul_f32_e32 v113, 0x3f7ee86f, v127
	v_add_f32_e32 v7, v8, v7
	v_mov_b32_e32 v8, v113
	v_fmac_f32_e32 v8, 0x3dbcf732, v25
	v_mul_f32_e32 v115, 0xbf2c7751, v128
	v_add_f32_e32 v7, v8, v7
	v_mov_b32_e32 v8, v115
	v_fmac_f32_e32 v8, 0x3f3d2fb0, v26
	v_mul_f32_e32 v117, 0xbe3c28d5, v129
	v_add_f32_e32 v7, v8, v7
	v_mov_b32_e32 v8, v117
	v_fmac_f32_e32 v8, 0xbf7ba420, v27
	v_mul_f32_e32 v132, 0x3ee437d1, v130
	v_add_f32_e32 v8, v8, v7
	v_mov_b32_e32 v7, v132
	v_fmac_f32_e32 v7, 0xbf65296c, v29
	v_mul_f32_e32 v133, 0x3f65296c, v131
	;; [unrolled: 64-line block ×4, first 2 shown]
	v_add_f32_e32 v11, v11, v10
	v_mov_b32_e32 v10, v165
	v_fmac_f32_e32 v10, 0x3f3d2fb0, v28
	v_mul_f32_e32 v166, 0x3ee437d1, v116
	v_add_f32_e32 v10, v10, v12
	v_mov_b32_e32 v12, v166
	v_mul_f32_e32 v167, 0xbf1a4643, v114
	v_fmac_f32_e32 v12, 0x3f65296c, v18
	v_mov_b32_e32 v13, v167
	v_add_f32_e32 v12, v1, v12
	v_fmac_f32_e32 v13, 0x3f4c4adb, v17
	v_mul_f32_e32 v168, 0xbf7ba420, v112
	v_add_f32_e32 v12, v13, v12
	v_mov_b32_e32 v13, v168
	v_fmac_f32_e32 v13, 0xbe3c28d5, v16
	v_mul_f32_e32 v169, 0xbe8c1d8e, v110
	v_add_f32_e32 v12, v13, v12
	v_mov_b32_e32 v13, v169
	;; [unrolled: 4-line block ×6, first 2 shown]
	v_mul_f32_e32 v174, 0xbf4c4adb, v124
	v_fmac_f32_e32 v13, 0x3ee437d1, v21
	v_mov_b32_e32 v118, v174
	v_add_f32_e32 v13, v0, v13
	v_fmac_f32_e32 v118, 0xbf1a4643, v22
	v_mul_f32_e32 v175, 0x3e3c28d5, v125
	v_add_f32_e32 v56, v1, v56
	v_add_f32_e32 v13, v118, v13
	v_mov_b32_e32 v118, v175
	v_add_f32_e32 v56, v56, v57
	v_fmac_f32_e32 v118, 0xbf7ba420, v23
	v_mul_f32_e32 v176, 0x3f763a35, v126
	v_add_f32_e32 v56, v56, v61
	v_add_f32_e32 v13, v118, v13
	;; [unrolled: 6-line block ×8, first 2 shown]
	v_add_f32_e32 v12, v12, v118
	v_mov_b32_e32 v118, v182
	v_mul_f32_e32 v183, 0x3dbcf732, v114
	v_add_f32_e32 v31, v31, v44
	v_fmac_f32_e32 v118, 0x3f2c7751, v18
	v_mov_b32_e32 v119, v183
	v_add_f32_e32 v31, v31, v46
	v_add_f32_e32 v118, v1, v118
	v_fmac_f32_e32 v119, 0x3f7ee86f, v17
	v_mul_f32_e32 v184, 0xbf1a4643, v112
	v_add_f32_e32 v31, v31, v48
	v_add_f32_e32 v118, v119, v118
	v_mov_b32_e32 v119, v184
	v_add_f32_e32 v31, v31, v50
	v_fmac_f32_e32 v119, 0x3f4c4adb, v16
	v_mul_f32_e32 v185, 0xbf7ba420, v110
	v_add_f32_e32 v31, v31, v51
	v_add_f32_e32 v118, v119, v118
	v_mov_b32_e32 v119, v185
	;; [unrolled: 6-line block ×5, first 2 shown]
	v_add_f32_e32 v31, v31, v45
	v_fmac_f32_e32 v119, 0xbf65296c, v20
	v_mul_f32_e32 v189, 0xbf2c7751, v123
	v_add_f32_e32 v31, v31, v42
	v_fmac_f32_e32 v58, 0xbe3c28d5, v18
	v_add_f32_e32 v118, v119, v118
	v_mov_b32_e32 v119, v189
	v_mul_f32_e32 v190, 0xbf7ee86f, v124
	v_add_f32_e32 v41, v31, v41
	v_add_f32_e32 v31, v30, v38
	;; [unrolled: 1-line block ×3, first 2 shown]
	v_fmac_f32_e32 v55, 0x3eb8f4ab, v17
	v_fmac_f32_e32 v119, 0x3f3d2fb0, v21
	v_mov_b32_e32 v191, v190
	v_add_f32_e32 v38, v55, v38
	v_fmac_f32_e32 v37, 0xbf06c442, v16
	v_add_f32_e32 v119, v0, v119
	v_fmac_f32_e32 v191, 0x3dbcf732, v22
	v_add_f32_e32 v37, v37, v38
	v_fma_f32 v38, v21, s6, -v73
	v_add_f32_e32 v119, v191, v119
	v_mul_f32_e32 v191, 0xbf4c4adb, v125
	v_add_f32_e32 v30, v41, v40
	v_add_f32_e32 v38, v0, v38
	v_fma_f32 v40, v22, s8, -v74
	v_mov_b32_e32 v192, v191
	v_fmac_f32_e32 v60, 0x3f2c7751, v19
	v_add_f32_e32 v38, v40, v38
	v_fma_f32 v40, v23, s7, -v75
	v_fmac_f32_e32 v192, 0xbf1a4643, v23
	v_add_f32_e32 v37, v60, v37
	v_fmac_f32_e32 v66, 0xbf4c4adb, v14
	v_add_f32_e32 v38, v40, v38
	v_fma_f32 v40, v24, s12, -v77
	v_add_f32_e32 v119, v192, v119
	v_mul_f32_e32 v192, 0xbe3c28d5, v126
	v_add_f32_e32 v37, v66, v37
	v_fmac_f32_e32 v69, 0x3f65296c, v15
	v_add_f32_e32 v38, v40, v38
	v_fma_f32 v40, v25, s9, -v78
	v_mov_b32_e32 v193, v192
	v_add_f32_e32 v37, v69, v37
	v_fmac_f32_e32 v71, 0xbf763a35, v20
	v_add_f32_e32 v38, v40, v38
	v_fma_f32 v40, v26, s14, -v79
	v_fmac_f32_e32 v193, 0xbf7ba420, v24
	v_add_f32_e32 v37, v71, v37
	v_add_f32_e32 v38, v40, v38
	v_fma_f32 v40, v27, s13, -v80
	v_fmac_f32_e32 v81, 0x3f7ee86f, v29
	v_add_f32_e32 v119, v193, v119
	v_mul_f32_e32 v193, 0x3f06c442, v127
	v_add_f32_e32 v40, v40, v38
	v_add_f32_e32 v38, v81, v37
	v_fma_f32 v37, v28, s15, -v83
	v_fmac_f32_e32 v84, 0xbf06c442, v18
	v_mov_b32_e32 v194, v193
	v_add_f32_e32 v37, v37, v40
	v_add_f32_e32 v40, v1, v84
	v_fmac_f32_e32 v85, 0x3f65296c, v17
	v_fma_f32 v41, v21, s7, -v91
	v_fmac_f32_e32 v194, 0xbf59a7d5, v25
	v_add_f32_e32 v40, v85, v40
	v_fmac_f32_e32 v86, 0xbf7ee86f, v16
	v_add_f32_e32 v41, v0, v41
	v_fma_f32 v42, v22, s14, -v92
	v_add_f32_e32 v119, v194, v119
	v_mul_f32_e32 v194, 0x3f763a35, v128
	v_add_f32_e32 v40, v86, v40
	v_fmac_f32_e32 v87, 0x3f4c4adb, v19
	v_add_f32_e32 v41, v42, v41
	v_fma_f32 v42, v23, s15, -v93
	v_mov_b32_e32 v195, v194
	v_add_f32_e32 v40, v87, v40
	v_fmac_f32_e32 v88, 0xbeb8f4ab, v14
	v_add_f32_e32 v41, v42, v41
	v_fma_f32 v42, v24, s9, -v94
	v_fmac_f32_e32 v195, 0xbe8c1d8e, v26
	v_add_f32_e32 v40, v88, v40
	v_fmac_f32_e32 v89, 0xbe3c28d5, v15
	v_add_f32_e32 v41, v42, v41
	v_fma_f32 v42, v25, s8, -v95
	v_add_f32_e32 v119, v195, v119
	v_mul_f32_e32 v195, 0x3f65296c, v129
	v_add_f32_e32 v40, v89, v40
	v_fmac_f32_e32 v90, 0x3f2c7751, v20
	v_add_f32_e32 v41, v42, v41
	v_fma_f32 v42, v26, s6, -v96
	v_mov_b32_e32 v196, v195
	v_add_f32_e32 v40, v90, v40
	v_add_f32_e32 v41, v42, v41
	v_fma_f32 v42, v27, s12, -v97
	v_fmac_f32_e32 v98, 0xbf763a35, v29
	v_fmac_f32_e32 v196, 0x3ee437d1, v27
	v_mul_f32_e32 v197, 0x3f6eb680, v130
	v_add_f32_e32 v42, v42, v41
	v_add_f32_e32 v41, v98, v40
	v_fma_f32 v40, v28, s13, -v99
	v_fmac_f32_e32 v100, 0xbf4c4adb, v18
	v_add_f32_e32 v196, v196, v119
	v_mov_b32_e32 v119, v197
	v_add_f32_e32 v40, v40, v42
	v_add_f32_e32 v42, v1, v100
	v_fmac_f32_e32 v101, 0x3f763a35, v17
	v_fma_f32 v43, v21, s9, -v107
	v_fmac_f32_e32 v119, 0xbeb8f4ab, v29
	v_mul_f32_e32 v198, 0x3eb8f4ab, v131
	v_add_f32_e32 v42, v101, v42
	v_fmac_f32_e32 v102, 0xbeb8f4ab, v16
	v_add_f32_e32 v43, v0, v43
	v_fma_f32 v44, v22, s13, -v108
	v_add_f32_e32 v119, v119, v118
	v_mov_b32_e32 v118, v198
	v_add_f32_e32 v42, v102, v42
	v_fmac_f32_e32 v103, 0xbf06c442, v19
	v_add_f32_e32 v43, v44, v43
	v_fma_f32 v44, v23, s8, -v109
	v_fmac_f32_e32 v118, 0x3f6eb680, v28
	v_mul_f32_e32 v116, 0x3f6eb680, v116
	v_add_f32_e32 v42, v103, v42
	v_fmac_f32_e32 v104, 0x3f7ee86f, v14
	v_add_f32_e32 v43, v44, v43
	v_fma_f32 v44, v24, s7, -v111
	v_add_f32_e32 v118, v118, v196
	v_mov_b32_e32 v196, v116
	v_mul_f32_e32 v114, 0x3f3d2fb0, v114
	v_add_f32_e32 v42, v104, v42
	v_fmac_f32_e32 v105, 0xbf2c7751, v15
	v_add_f32_e32 v43, v44, v43
	v_fma_f32 v44, v25, s15, -v113
	v_fmac_f32_e32 v196, 0x3eb8f4ab, v18
	v_mov_b32_e32 v199, v114
	v_add_f32_e32 v42, v105, v42
	v_fmac_f32_e32 v106, 0xbe3c28d5, v20
	v_add_f32_e32 v43, v44, v43
	v_fma_f32 v44, v26, s12, -v115
	v_add_f32_e32 v196, v1, v196
	v_fmac_f32_e32 v199, 0x3f2c7751, v17
	v_mul_f32_e32 v112, 0x3ee437d1, v112
	v_add_f32_e32 v42, v106, v42
	v_add_f32_e32 v43, v44, v43
	v_fma_f32 v44, v27, s6, -v117
	v_fmac_f32_e32 v132, 0x3f65296c, v29
	v_add_f32_e32 v196, v199, v196
	v_mov_b32_e32 v199, v112
	v_add_f32_e32 v44, v44, v43
	v_add_f32_e32 v43, v132, v42
	v_fma_f32 v42, v28, s14, -v133
	v_fmac_f32_e32 v134, 0xbf763a35, v18
	v_fmac_f32_e32 v199, 0x3f65296c, v16
	v_mul_f32_e32 v110, 0x3dbcf732, v110
	v_add_f32_e32 v42, v42, v44
	v_add_f32_e32 v44, v1, v134
	v_fmac_f32_e32 v135, 0x3f06c442, v17
	v_fma_f32 v45, v21, s13, -v141
	v_add_f32_e32 v196, v199, v196
	v_mov_b32_e32 v199, v110
	v_add_f32_e32 v44, v135, v44
	v_fmac_f32_e32 v136, 0x3f2c7751, v16
	v_add_f32_e32 v45, v0, v45
	v_fma_f32 v46, v22, s7, -v142
	v_fmac_f32_e32 v199, 0x3f7ee86f, v19
	v_add_f32_e32 v44, v136, v44
	v_fmac_f32_e32 v137, 0xbf65296c, v19
	v_add_f32_e32 v45, v46, v45
	v_fma_f32 v46, v23, s12, -v143
	v_add_f32_e32 v196, v199, v196
	v_mul_f32_e32 v199, 0xbe8c1d8e, v120
	v_add_f32_e32 v44, v137, v44
	v_fmac_f32_e32 v138, 0xbe3c28d5, v14
	v_add_f32_e32 v45, v46, v45
	v_fma_f32 v46, v24, s14, -v144
	v_mov_b32_e32 v120, v199
	v_add_f32_e32 v44, v138, v44
	v_fmac_f32_e32 v139, 0x3f7ee86f, v15
	v_add_f32_e32 v45, v46, v45
	v_fma_f32 v46, v25, s6, -v145
	v_fmac_f32_e32 v120, 0x3f763a35, v14
	v_add_f32_e32 v44, v139, v44
	v_fmac_f32_e32 v140, 0xbeb8f4ab, v20
	v_add_f32_e32 v45, v46, v45
	v_fma_f32 v46, v26, s15, -v146
	v_add_f32_e32 v120, v120, v196
	v_mul_f32_e32 v196, 0xbf1a4643, v121
	v_add_f32_e32 v44, v140, v44
	v_add_f32_e32 v45, v46, v45
	v_fma_f32 v46, v27, s8, -v147
	v_fmac_f32_e32 v148, 0xbf4c4adb, v29
	v_mov_b32_e32 v121, v196
	v_add_f32_e32 v46, v46, v45
	v_add_f32_e32 v45, v148, v44
	v_fma_f32 v44, v28, s9, -v149
	v_fmac_f32_e32 v150, 0xbf7ee86f, v18
	v_fmac_f32_e32 v121, 0x3f4c4adb, v15
	v_mul_f32_e32 v122, 0xbf59a7d5, v122
	v_add_f32_e32 v44, v44, v46
	v_add_f32_e32 v46, v1, v150
	v_fmac_f32_e32 v151, 0xbe3c28d5, v17
	v_fma_f32 v47, v21, s15, -v157
	v_add_f32_e32 v120, v121, v120
	v_mov_b32_e32 v121, v122
	v_add_f32_e32 v46, v151, v46
	v_fmac_f32_e32 v152, 0x3f763a35, v16
	v_add_f32_e32 v47, v0, v47
	v_fma_f32 v48, v22, s6, -v158
	v_fmac_f32_e32 v121, 0x3f06c442, v20
	v_mul_f32_e32 v123, 0xbeb8f4ab, v123
	v_add_f32_e32 v46, v152, v46
	v_fmac_f32_e32 v153, 0x3eb8f4ab, v19
	v_add_f32_e32 v47, v48, v47
	v_fma_f32 v48, v23, s13, -v159
	v_add_f32_e32 v120, v121, v120
	v_mov_b32_e32 v121, v123
	v_mul_f32_e32 v124, 0xbf2c7751, v124
	v_add_f32_e32 v46, v153, v46
	v_fmac_f32_e32 v154, 0xbf65296c, v14
	v_add_f32_e32 v47, v48, v47
	v_fma_f32 v48, v24, s8, -v160
	v_fmac_f32_e32 v121, 0x3f6eb680, v21
	v_mov_b32_e32 v200, v124
	v_add_f32_e32 v46, v154, v46
	v_fmac_f32_e32 v155, 0xbf06c442, v15
	v_add_f32_e32 v47, v48, v47
	v_fma_f32 v48, v25, s14, -v161
	v_add_f32_e32 v121, v0, v121
	v_fmac_f32_e32 v200, 0x3f3d2fb0, v22
	v_mul_f32_e32 v125, 0xbf65296c, v125
	v_add_f32_e32 v46, v155, v46
	v_fmac_f32_e32 v156, 0x3f4c4adb, v20
	v_add_f32_e32 v47, v48, v47
	v_fma_f32 v48, v26, s7, -v162
	v_add_f32_e32 v121, v200, v121
	v_mov_b32_e32 v200, v125
	v_add_f32_e32 v46, v156, v46
	v_add_f32_e32 v47, v48, v47
	v_fma_f32 v48, v27, s9, -v163
	v_fmac_f32_e32 v164, 0x3f2c7751, v29
	v_fmac_f32_e32 v200, 0x3ee437d1, v23
	v_mul_f32_e32 v126, 0xbf7ee86f, v126
	v_add_f32_e32 v48, v48, v47
	v_add_f32_e32 v47, v164, v46
	v_fma_f32 v46, v28, s12, -v165
	v_fmac_f32_e32 v166, 0xbf65296c, v18
	v_add_f32_e32 v121, v200, v121
	v_mov_b32_e32 v200, v126
	v_add_f32_e32 v46, v46, v48
	v_add_f32_e32 v48, v1, v166
	v_fmac_f32_e32 v167, 0xbf4c4adb, v17
	v_fma_f32 v49, v21, s14, -v173
	v_fmac_f32_e32 v200, 0x3dbcf732, v24
	v_mul_f32_e32 v127, 0xbf763a35, v127
	v_add_f32_e32 v48, v167, v48
	v_fmac_f32_e32 v168, 0x3e3c28d5, v16
	v_add_f32_e32 v49, v0, v49
	v_fma_f32 v50, v22, s9, -v174
	v_add_f32_e32 v121, v200, v121
	v_mov_b32_e32 v200, v127
	v_add_f32_e32 v48, v168, v48
	v_fmac_f32_e32 v169, 0x3f763a35, v19
	v_add_f32_e32 v49, v50, v49
	v_fma_f32 v50, v23, s6, -v175
	v_fmac_f32_e32 v200, 0xbe8c1d8e, v25
	v_mul_f32_e32 v128, 0xbf4c4adb, v128
	v_add_f32_e32 v48, v169, v48
	v_fmac_f32_e32 v170, 0x3f2c7751, v14
	v_add_f32_e32 v49, v50, v49
	v_fma_f32 v50, v24, s13, -v176
	v_add_f32_e32 v121, v200, v121
	v_mov_b32_e32 v200, v128
	v_add_f32_e32 v48, v170, v48
	v_fmac_f32_e32 v171, 0xbeb8f4ab, v15
	v_add_f32_e32 v49, v50, v49
	v_fma_f32 v50, v25, s12, -v177
	v_fmac_f32_e32 v200, 0xbf1a4643, v26
	v_mul_f32_e32 v129, 0xbf06c442, v129
	v_add_f32_e32 v48, v171, v48
	v_fmac_f32_e32 v172, 0xbf7ee86f, v20
	v_add_f32_e32 v49, v50, v49
	v_fma_f32 v50, v26, s8, -v178
	v_add_f32_e32 v121, v200, v121
	v_mov_b32_e32 v200, v129
	v_add_f32_e32 v48, v172, v48
	v_add_f32_e32 v49, v50, v49
	v_fma_f32 v50, v27, s15, -v179
	v_fmac_f32_e32 v180, 0xbf06c442, v29
	v_fmac_f32_e32 v200, 0xbf59a7d5, v27
	v_mul_f32_e32 v130, 0xbf7ba420, v130
	v_add_f32_e32 v50, v50, v49
	v_add_f32_e32 v49, v180, v48
	v_fma_f32 v48, v28, s7, -v181
	v_fmac_f32_e32 v182, 0xbf2c7751, v18
	v_add_f32_e32 v200, v200, v121
	v_mov_b32_e32 v121, v130
	v_add_f32_e32 v48, v48, v50
	v_add_f32_e32 v50, v1, v182
	v_fmac_f32_e32 v183, 0xbf7ee86f, v17
	v_fmac_f32_e32 v186, 0x3f06c442, v14
	v_fma_f32 v51, v21, s12, -v189
	v_fmac_f32_e32 v116, 0xbeb8f4ab, v18
	v_fmac_f32_e32 v199, 0xbf763a35, v14
	v_fma_f32 v14, v21, s8, -v123
	v_fmac_f32_e32 v121, 0x3e3c28d5, v29
	v_mul_f32_e32 v131, 0xbe3c28d5, v131
	v_add_f32_e32 v50, v183, v50
	v_fmac_f32_e32 v184, 0xbf4c4adb, v16
	v_add_f32_e32 v51, v0, v51
	v_fma_f32 v52, v22, s15, -v190
	v_fmac_f32_e32 v114, 0xbf2c7751, v17
	v_add_f32_e32 v1, v1, v116
	v_add_f32_e32 v0, v0, v14
	v_fma_f32 v14, v22, s12, -v124
	v_add_f32_e32 v121, v121, v120
	v_mov_b32_e32 v120, v131
	v_add_f32_e32 v50, v184, v50
	v_fmac_f32_e32 v185, 0xbe3c28d5, v19
	v_add_f32_e32 v51, v52, v51
	v_fma_f32 v52, v23, s9, -v191
	v_add_f32_e32 v1, v114, v1
	v_fmac_f32_e32 v112, 0xbf65296c, v16
	v_add_f32_e32 v0, v14, v0
	v_fma_f32 v14, v23, s14, -v125
	v_fmac_f32_e32 v120, 0xbf7ba420, v28
	v_add_f32_e32 v50, v185, v50
	v_add_f32_e32 v51, v52, v51
	v_fma_f32 v52, v24, s6, -v192
	v_add_f32_e32 v1, v112, v1
	v_fmac_f32_e32 v110, 0xbf7ee86f, v19
	v_add_f32_e32 v0, v14, v0
	v_fma_f32 v14, v24, s15, -v126
	v_add_f32_e32 v120, v120, v200
	v_add_f32_e32 v50, v186, v50
	v_fmac_f32_e32 v187, 0x3f763a35, v15
	v_add_f32_e32 v51, v52, v51
	v_fma_f32 v52, v25, s7, -v193
	v_add_f32_e32 v1, v110, v1
	v_add_f32_e32 v0, v14, v0
	v_fma_f32 v14, v25, s13, -v127
	v_add_f32_e32 v50, v187, v50
	v_fmac_f32_e32 v188, 0x3f65296c, v20
	v_add_f32_e32 v51, v52, v51
	v_fma_f32 v52, v26, s13, -v194
	v_add_f32_e32 v1, v199, v1
	v_fmac_f32_e32 v196, 0xbf4c4adb, v15
	v_add_f32_e32 v0, v14, v0
	v_fma_f32 v14, v26, s9, -v128
	ds_write2_b64 v39, v[30:31], v[120:121] offset1:50
	ds_write2_b64 v39, v[118:119], v[12:13] offset0:100 offset1:150
	ds_write2_b64 v39, v[10:11], v[8:9] offset0:200 offset1:250
	v_add_u32_e32 v8, 0x800, v39
	v_add_f32_e32 v50, v188, v50
	v_add_f32_e32 v51, v52, v51
	v_fma_f32 v52, v27, s14, -v195
	v_fmac_f32_e32 v197, 0x3eb8f4ab, v29
	v_add_f32_e32 v1, v196, v1
	v_fmac_f32_e32 v122, 0xbf06c442, v20
	v_add_f32_e32 v0, v14, v0
	v_fma_f32 v14, v27, s7, -v129
	ds_write2_b64 v8, v[6:7], v[4:5] offset0:44 offset1:94
	ds_write2_b64 v8, v[2:3], v[37:38] offset0:144 offset1:194
	v_add_u32_e32 v2, 0xc00, v39
	v_add_f32_e32 v52, v52, v51
	v_add_f32_e32 v51, v197, v50
	v_fma_f32 v50, v28, s8, -v198
	v_add_f32_e32 v1, v122, v1
	v_fmac_f32_e32 v130, 0xbe3c28d5, v29
	v_add_f32_e32 v0, v14, v0
	v_fma_f32 v14, v28, s6, -v131
	ds_write2_b64 v2, v[40:41], v[42:43] offset0:116 offset1:166
	v_add_u32_e32 v2, 0x1000, v39
	v_add_f32_e32 v50, v50, v52
	v_add_f32_e32 v1, v130, v1
	;; [unrolled: 1-line block ×3, first 2 shown]
	ds_write2_b64 v2, v[44:45], v[46:47] offset0:88 offset1:138
	ds_write2_b64 v2, v[48:49], v[50:51] offset0:188 offset1:238
	ds_write_b64 v39, v[0:1] offset:6400
.LBB0_23:
	s_or_b64 exec, exec, s[4:5]
	s_waitcnt lgkmcnt(0)
	s_barrier
	s_and_saveexec_b64 s[4:5], s[0:1]
	s_cbranch_execz .LBB0_25
; %bb.24:
	v_mul_lo_u32 v0, s3, v34
	v_mul_lo_u32 v1, s2, v35
	v_mad_u64_u32 v[4:5], s[0:1], s2, v34, 0
	v_mov_b32_e32 v7, s11
	v_lshl_add_u32 v6, v36, 3, 0
	v_add3_u32 v5, v5, v1, v0
	v_lshlrev_b64 v[4:5], 3, v[4:5]
	v_mov_b32_e32 v37, 0
	v_add_co_u32_e32 v8, vcc, s10, v4
	v_addc_co_u32_e32 v7, vcc, v7, v5, vcc
	v_lshlrev_b64 v[4:5], 3, v[32:33]
	ds_read2_b64 v[0:3], v6 offset1:85
	v_add_co_u32_e32 v8, vcc, v8, v4
	v_addc_co_u32_e32 v7, vcc, v7, v5, vcc
	v_lshlrev_b64 v[4:5], 3, v[36:37]
	v_add_co_u32_e32 v4, vcc, v8, v4
	v_addc_co_u32_e32 v5, vcc, v7, v5, vcc
	s_waitcnt lgkmcnt(0)
	global_store_dwordx2 v[4:5], v[0:1], off
	v_add_u32_e32 v0, 0x55, v36
	v_mov_b32_e32 v1, v37
	v_lshlrev_b64 v[0:1], 3, v[0:1]
	v_add_u32_e32 v4, 0xaa, v36
	v_add_co_u32_e32 v0, vcc, v8, v0
	v_addc_co_u32_e32 v1, vcc, v7, v1, vcc
	global_store_dwordx2 v[0:1], v[2:3], off
	v_mov_b32_e32 v5, v37
	ds_read2_b64 v[0:3], v6 offset0:170 offset1:255
	v_lshlrev_b64 v[4:5], 3, v[4:5]
	v_add_co_u32_e32 v4, vcc, v8, v4
	v_addc_co_u32_e32 v5, vcc, v7, v5, vcc
	s_waitcnt lgkmcnt(0)
	global_store_dwordx2 v[4:5], v[0:1], off
	v_add_u32_e32 v0, 0xff, v36
	v_mov_b32_e32 v1, v37
	v_lshlrev_b64 v[0:1], 3, v[0:1]
	v_add_u32_e32 v4, 0x154, v36
	v_add_co_u32_e32 v0, vcc, v8, v0
	v_addc_co_u32_e32 v1, vcc, v7, v1, vcc
	global_store_dwordx2 v[0:1], v[2:3], off
	v_add_u32_e32 v0, 0x800, v6
	v_mov_b32_e32 v5, v37
	ds_read2_b64 v[0:3], v0 offset0:84 offset1:169
	v_lshlrev_b64 v[4:5], 3, v[4:5]
	v_add_co_u32_e32 v4, vcc, v8, v4
	v_addc_co_u32_e32 v5, vcc, v7, v5, vcc
	s_waitcnt lgkmcnt(0)
	global_store_dwordx2 v[4:5], v[0:1], off
	v_add_u32_e32 v0, 0x1a9, v36
	v_mov_b32_e32 v1, v37
	v_lshlrev_b64 v[0:1], 3, v[0:1]
	v_add_u32_e32 v4, 0x1fe, v36
	v_add_co_u32_e32 v0, vcc, v8, v0
	v_addc_co_u32_e32 v1, vcc, v7, v1, vcc
	global_store_dwordx2 v[0:1], v[2:3], off
	v_add_u32_e32 v0, 0xc00, v6
	;; [unrolled: 15-line block ×3, first 2 shown]
	v_mov_b32_e32 v5, v37
	ds_read2_b64 v[0:3], v0 offset0:168 offset1:253
	v_lshlrev_b64 v[4:5], 3, v[4:5]
	v_add_u32_e32 v36, 0x2fd, v36
	v_add_co_u32_e32 v4, vcc, v8, v4
	v_addc_co_u32_e32 v5, vcc, v7, v5, vcc
	s_waitcnt lgkmcnt(0)
	global_store_dwordx2 v[4:5], v[0:1], off
	v_lshlrev_b64 v[0:1], 3, v[36:37]
	v_add_co_u32_e32 v0, vcc, v8, v0
	v_addc_co_u32_e32 v1, vcc, v7, v1, vcc
	global_store_dwordx2 v[0:1], v[2:3], off
.LBB0_25:
	s_endpgm
	.section	.rodata,"a",@progbits
	.p2align	6, 0x0
	.amdhsa_kernel fft_rtc_back_len850_factors_10_5_17_wgs_85_tpt_85_sp_op_CI_CI_unitstride_sbrr_C2R_dirReg
		.amdhsa_group_segment_fixed_size 0
		.amdhsa_private_segment_fixed_size 0
		.amdhsa_kernarg_size 104
		.amdhsa_user_sgpr_count 6
		.amdhsa_user_sgpr_private_segment_buffer 1
		.amdhsa_user_sgpr_dispatch_ptr 0
		.amdhsa_user_sgpr_queue_ptr 0
		.amdhsa_user_sgpr_kernarg_segment_ptr 1
		.amdhsa_user_sgpr_dispatch_id 0
		.amdhsa_user_sgpr_flat_scratch_init 0
		.amdhsa_user_sgpr_private_segment_size 0
		.amdhsa_uses_dynamic_stack 0
		.amdhsa_system_sgpr_private_segment_wavefront_offset 0
		.amdhsa_system_sgpr_workgroup_id_x 1
		.amdhsa_system_sgpr_workgroup_id_y 0
		.amdhsa_system_sgpr_workgroup_id_z 0
		.amdhsa_system_sgpr_workgroup_info 0
		.amdhsa_system_vgpr_workitem_id 0
		.amdhsa_next_free_vgpr 201
		.amdhsa_next_free_sgpr 28
		.amdhsa_reserve_vcc 1
		.amdhsa_reserve_flat_scratch 0
		.amdhsa_float_round_mode_32 0
		.amdhsa_float_round_mode_16_64 0
		.amdhsa_float_denorm_mode_32 3
		.amdhsa_float_denorm_mode_16_64 3
		.amdhsa_dx10_clamp 1
		.amdhsa_ieee_mode 1
		.amdhsa_fp16_overflow 0
		.amdhsa_exception_fp_ieee_invalid_op 0
		.amdhsa_exception_fp_denorm_src 0
		.amdhsa_exception_fp_ieee_div_zero 0
		.amdhsa_exception_fp_ieee_overflow 0
		.amdhsa_exception_fp_ieee_underflow 0
		.amdhsa_exception_fp_ieee_inexact 0
		.amdhsa_exception_int_div_zero 0
	.end_amdhsa_kernel
	.text
.Lfunc_end0:
	.size	fft_rtc_back_len850_factors_10_5_17_wgs_85_tpt_85_sp_op_CI_CI_unitstride_sbrr_C2R_dirReg, .Lfunc_end0-fft_rtc_back_len850_factors_10_5_17_wgs_85_tpt_85_sp_op_CI_CI_unitstride_sbrr_C2R_dirReg
                                        ; -- End function
	.section	.AMDGPU.csdata,"",@progbits
; Kernel info:
; codeLenInByte = 10616
; NumSgprs: 32
; NumVgprs: 201
; ScratchSize: 0
; MemoryBound: 0
; FloatMode: 240
; IeeeMode: 1
; LDSByteSize: 0 bytes/workgroup (compile time only)
; SGPRBlocks: 3
; VGPRBlocks: 50
; NumSGPRsForWavesPerEU: 32
; NumVGPRsForWavesPerEU: 201
; Occupancy: 1
; WaveLimiterHint : 1
; COMPUTE_PGM_RSRC2:SCRATCH_EN: 0
; COMPUTE_PGM_RSRC2:USER_SGPR: 6
; COMPUTE_PGM_RSRC2:TRAP_HANDLER: 0
; COMPUTE_PGM_RSRC2:TGID_X_EN: 1
; COMPUTE_PGM_RSRC2:TGID_Y_EN: 0
; COMPUTE_PGM_RSRC2:TGID_Z_EN: 0
; COMPUTE_PGM_RSRC2:TIDIG_COMP_CNT: 0
	.type	__hip_cuid_2af7d32dabd703f3,@object ; @__hip_cuid_2af7d32dabd703f3
	.section	.bss,"aw",@nobits
	.globl	__hip_cuid_2af7d32dabd703f3
__hip_cuid_2af7d32dabd703f3:
	.byte	0                               ; 0x0
	.size	__hip_cuid_2af7d32dabd703f3, 1

	.ident	"AMD clang version 19.0.0git (https://github.com/RadeonOpenCompute/llvm-project roc-6.4.0 25133 c7fe45cf4b819c5991fe208aaa96edf142730f1d)"
	.section	".note.GNU-stack","",@progbits
	.addrsig
	.addrsig_sym __hip_cuid_2af7d32dabd703f3
	.amdgpu_metadata
---
amdhsa.kernels:
  - .args:
      - .actual_access:  read_only
        .address_space:  global
        .offset:         0
        .size:           8
        .value_kind:     global_buffer
      - .offset:         8
        .size:           8
        .value_kind:     by_value
      - .actual_access:  read_only
        .address_space:  global
        .offset:         16
        .size:           8
        .value_kind:     global_buffer
      - .actual_access:  read_only
        .address_space:  global
        .offset:         24
        .size:           8
        .value_kind:     global_buffer
      - .actual_access:  read_only
        .address_space:  global
        .offset:         32
        .size:           8
        .value_kind:     global_buffer
      - .offset:         40
        .size:           8
        .value_kind:     by_value
      - .actual_access:  read_only
        .address_space:  global
        .offset:         48
        .size:           8
        .value_kind:     global_buffer
      - .actual_access:  read_only
        .address_space:  global
        .offset:         56
        .size:           8
        .value_kind:     global_buffer
      - .offset:         64
        .size:           4
        .value_kind:     by_value
      - .actual_access:  read_only
        .address_space:  global
        .offset:         72
        .size:           8
        .value_kind:     global_buffer
      - .actual_access:  read_only
        .address_space:  global
        .offset:         80
        .size:           8
        .value_kind:     global_buffer
      - .actual_access:  read_only
        .address_space:  global
        .offset:         88
        .size:           8
        .value_kind:     global_buffer
      - .actual_access:  write_only
        .address_space:  global
        .offset:         96
        .size:           8
        .value_kind:     global_buffer
    .group_segment_fixed_size: 0
    .kernarg_segment_align: 8
    .kernarg_segment_size: 104
    .language:       OpenCL C
    .language_version:
      - 2
      - 0
    .max_flat_workgroup_size: 85
    .name:           fft_rtc_back_len850_factors_10_5_17_wgs_85_tpt_85_sp_op_CI_CI_unitstride_sbrr_C2R_dirReg
    .private_segment_fixed_size: 0
    .sgpr_count:     32
    .sgpr_spill_count: 0
    .symbol:         fft_rtc_back_len850_factors_10_5_17_wgs_85_tpt_85_sp_op_CI_CI_unitstride_sbrr_C2R_dirReg.kd
    .uniform_work_group_size: 1
    .uses_dynamic_stack: false
    .vgpr_count:     201
    .vgpr_spill_count: 0
    .wavefront_size: 64
amdhsa.target:   amdgcn-amd-amdhsa--gfx906
amdhsa.version:
  - 1
  - 2
...

	.end_amdgpu_metadata
